;; amdgpu-corpus repo=ROCm/rocFFT kind=compiled arch=gfx1030 opt=O3
	.text
	.amdgcn_target "amdgcn-amd-amdhsa--gfx1030"
	.amdhsa_code_object_version 6
	.protected	bluestein_single_back_len448_dim1_sp_op_CI_CI ; -- Begin function bluestein_single_back_len448_dim1_sp_op_CI_CI
	.globl	bluestein_single_back_len448_dim1_sp_op_CI_CI
	.p2align	8
	.type	bluestein_single_back_len448_dim1_sp_op_CI_CI,@function
bluestein_single_back_len448_dim1_sp_op_CI_CI: ; @bluestein_single_back_len448_dim1_sp_op_CI_CI
; %bb.0:
	s_load_dwordx4 s[0:3], s[4:5], 0x28
	v_lshrrev_b32_e32 v1, 6, v0
	v_mov_b32_e32 v41, 0
	v_lshl_or_b32 v40, s6, 1, v1
	s_waitcnt lgkmcnt(0)
	v_cmp_gt_u64_e32 vcc_lo, s[0:1], v[40:41]
	s_and_saveexec_b32 s0, vcc_lo
	s_cbranch_execz .LBB0_23
; %bb.1:
	s_clause 0x1
	s_load_dwordx2 s[14:15], s[4:5], 0x0
	s_load_dwordx2 s[12:13], s[4:5], 0x38
	v_and_b32_e32 v1, 1, v1
	v_and_b32_e32 v44, 63, v0
	v_cmp_eq_u32_e32 vcc_lo, 1, v1
	v_lshlrev_b32_e32 v45, 3, v44
	v_cndmask_b32_e64 v43, 0, 0x1c0, vcc_lo
	v_cmp_gt_u32_e32 vcc_lo, 56, v44
	v_or_b32_e32 v16, v43, v44
	s_and_saveexec_b32 s1, vcc_lo
	s_cbranch_execz .LBB0_3
; %bb.2:
	s_load_dwordx2 s[6:7], s[4:5], 0x18
	s_waitcnt lgkmcnt(0)
	v_add_co_u32 v17, s0, s14, v45
	v_add_co_ci_u32_e64 v18, null, s15, 0, s0
	v_lshl_add_u32 v35, v43, 3, v45
	v_lshlrev_b32_e32 v36, 3, v16
	v_add_nc_u32_e32 v37, 0x800, v35
	s_load_dwordx4 s[8:11], s[6:7], 0x0
	s_waitcnt lgkmcnt(0)
	v_mad_u64_u32 v[0:1], null, s10, v40, 0
	v_mad_u64_u32 v[2:3], null, s8, v44, 0
	s_mul_i32 s6, s9, 0x1c0
	s_mul_hi_u32 s7, s8, 0x1c0
	s_add_i32 s7, s7, s6
	v_mad_u64_u32 v[4:5], null, s11, v40, v[1:2]
	v_mad_u64_u32 v[5:6], null, s9, v44, v[3:4]
	v_mov_b32_e32 v1, v4
	v_add_co_u32 v4, s0, 0x800, v17
	s_clause 0x4
	global_load_dwordx2 v[6:7], v45, s[14:15]
	global_load_dwordx2 v[8:9], v45, s[14:15] offset:448
	global_load_dwordx2 v[10:11], v45, s[14:15] offset:896
	;; [unrolled: 1-line block ×4, first 2 shown]
	v_lshlrev_b64 v[0:1], 3, v[0:1]
	v_mov_b32_e32 v3, v5
	v_add_co_ci_u32_e64 v5, s0, 0, v18, s0
	v_lshlrev_b64 v[2:3], 3, v[2:3]
	v_add_co_u32 v0, s0, s2, v0
	v_add_co_ci_u32_e64 v1, s0, s3, v1, s0
	s_mul_i32 s2, s8, 0x1c0
	v_add_co_u32 v0, s0, v0, v2
	v_add_co_ci_u32_e64 v1, s0, v1, v3, s0
	global_load_dwordx2 v[17:18], v[4:5], off offset:192
	v_add_co_u32 v2, s0, v0, s2
	v_add_co_ci_u32_e64 v3, s0, s7, v1, s0
	global_load_dwordx2 v[0:1], v[0:1], off
	v_add_co_u32 v19, s0, v2, s2
	v_add_co_ci_u32_e64 v20, s0, s7, v3, s0
	global_load_dwordx2 v[2:3], v[2:3], off
	v_add_co_u32 v21, s0, v19, s2
	v_add_co_ci_u32_e64 v22, s0, s7, v20, s0
	v_add_co_u32 v23, s0, v21, s2
	v_add_co_ci_u32_e64 v24, s0, s7, v22, s0
	s_clause 0x1
	global_load_dwordx2 v[19:20], v[19:20], off
	global_load_dwordx2 v[21:22], v[21:22], off
	v_add_co_u32 v25, s0, v23, s2
	v_add_co_ci_u32_e64 v26, s0, s7, v24, s0
	global_load_dwordx2 v[23:24], v[23:24], off
	v_add_co_u32 v27, s0, v25, s2
	v_add_co_ci_u32_e64 v28, s0, s7, v26, s0
	;; [unrolled: 3-line block ×3, first 2 shown]
	global_load_dwordx2 v[27:28], v[27:28], off
	s_clause 0x1
	global_load_dwordx2 v[31:32], v[4:5], off offset:640
	global_load_dwordx2 v[4:5], v[4:5], off offset:1088
	global_load_dwordx2 v[29:30], v[29:30], off
	s_waitcnt vmcnt(9)
	v_mul_f32_e32 v33, v1, v7
	v_mul_f32_e32 v34, v0, v7
	v_fmac_f32_e32 v33, v0, v6
	s_waitcnt vmcnt(8)
	v_mul_f32_e32 v0, v3, v9
	v_mul_f32_e32 v9, v2, v9
	v_fma_f32 v34, v1, v6, -v34
	v_fmac_f32_e32 v0, v2, v8
	v_fma_f32 v1, v3, v8, -v9
	s_waitcnt vmcnt(7)
	v_mul_f32_e32 v6, v19, v11
	v_mul_f32_e32 v7, v20, v11
	s_waitcnt vmcnt(6)
	v_mul_f32_e32 v2, v22, v13
	v_mul_f32_e32 v3, v21, v13
	v_fma_f32 v8, v20, v10, -v6
	s_waitcnt vmcnt(5)
	v_mul_f32_e32 v9, v24, v15
	v_mul_f32_e32 v6, v23, v15
	v_fmac_f32_e32 v7, v19, v10
	v_fmac_f32_e32 v2, v21, v12
	v_fma_f32 v3, v22, v12, -v3
	s_waitcnt vmcnt(4)
	v_mul_f32_e32 v11, v26, v18
	v_fmac_f32_e32 v9, v23, v14
	v_fma_f32 v10, v24, v14, -v6
	v_mul_f32_e32 v6, v25, v18
	s_waitcnt vmcnt(2)
	v_mul_f32_e32 v13, v28, v32
	v_mul_f32_e32 v14, v27, v32
	s_waitcnt vmcnt(0)
	v_mul_f32_e32 v18, v30, v5
	v_mul_f32_e32 v5, v29, v5
	v_fmac_f32_e32 v11, v25, v17
	v_fma_f32 v12, v26, v17, -v6
	v_fmac_f32_e32 v13, v27, v31
	v_fma_f32 v14, v28, v31, -v14
	;; [unrolled: 2-line block ×3, first 2 shown]
	ds_write_b64 v36, v[33:34]
	ds_write2_b64 v35, v[0:1], v[7:8] offset0:56 offset1:112
	ds_write2_b64 v35, v[2:3], v[9:10] offset0:168 offset1:224
	;; [unrolled: 1-line block ×3, first 2 shown]
	ds_write_b64 v35, v[18:19] offset:3136
.LBB0_3:
	s_or_b32 exec_lo, exec_lo, s1
	s_clause 0x1
	s_load_dwordx2 s[2:3], s[4:5], 0x20
	s_load_dwordx2 s[0:1], s[4:5], 0x8
	v_lshlrev_b32_e32 v46, 3, v43
	s_waitcnt lgkmcnt(0)
	s_barrier
	buffer_gl0_inv
                                        ; implicit-def: $vgpr14
                                        ; implicit-def: $vgpr10
                                        ; implicit-def: $vgpr2
                                        ; implicit-def: $vgpr6
                                        ; implicit-def: $vgpr12
	s_and_saveexec_b32 s4, vcc_lo
	s_cbranch_execz .LBB0_5
; %bb.4:
	v_lshl_add_u32 v14, v44, 3, v46
	v_lshlrev_b32_e32 v12, 3, v16
	v_add_nc_u32_e32 v8, 0x800, v14
	ds_read2_b64 v[4:7], v14 offset0:56 offset1:112
	ds_read2_b64 v[0:3], v14 offset0:168 offset1:224
	;; [unrolled: 1-line block ×3, first 2 shown]
	ds_read_b64 v[12:13], v12
	ds_read_b64 v[14:15], v14 offset:3136
.LBB0_5:
	s_or_b32 exec_lo, exec_lo, s4
	s_waitcnt lgkmcnt(1)
	v_sub_f32_e32 v2, v12, v2
	v_sub_f32_e32 v3, v13, v3
	;; [unrolled: 1-line block ×6, first 2 shown]
	s_waitcnt lgkmcnt(0)
	v_sub_f32_e32 v15, v1, v15
	v_sub_f32_e32 v20, v0, v14
	;; [unrolled: 1-line block ×3, first 2 shown]
	v_add_f32_e32 v14, v17, v3
	v_sub_f32_e32 v11, v8, v15
	v_add_f32_e32 v18, v20, v10
	s_barrier
	buffer_gl0_inv
	v_fmamk_f32 v26, v11, 0x3f3504f3, v9
	v_fmamk_f32 v27, v18, 0x3f3504f3, v14
	v_fmac_f32_e32 v26, 0xbf3504f3, v18
	v_fmac_f32_e32 v27, 0x3f3504f3, v11
	s_and_saveexec_b32 s4, vcc_lo
	s_cbranch_execz .LBB0_7
; %bb.6:
	v_fma_f32 v13, v13, 2.0, -v3
	v_fma_f32 v7, v7, 2.0, -v19
	;; [unrolled: 1-line block ×10, first 2 shown]
	v_sub_f32_e32 v7, v13, v7
	v_sub_f32_e32 v0, v4, v0
	v_fma_f32 v14, v3, 2.0, -v14
	v_fma_f32 v10, v10, 2.0, -v18
	;; [unrolled: 1-line block ×4, first 2 shown]
	v_sub_f32_e32 v11, v5, v1
	v_sub_f32_e32 v15, v12, v6
	v_add_f32_e32 v25, v0, v7
	v_fmamk_f32 v3, v10, 0xbf3504f3, v14
	v_fmamk_f32 v2, v8, 0xbf3504f3, v9
	v_fma_f32 v13, v13, 2.0, -v7
	v_fma_f32 v1, v5, 2.0, -v11
	;; [unrolled: 1-line block ×4, first 2 shown]
	v_fmac_f32_e32 v3, 0x3f3504f3, v8
	v_fmac_f32_e32 v2, 0xbf3504f3, v10
	v_sub_f32_e32 v1, v13, v1
	v_sub_f32_e32 v24, v15, v11
	;; [unrolled: 1-line block ×3, first 2 shown]
	v_fma_f32 v18, v7, 2.0, -v25
	v_fma_f32 v7, v14, 2.0, -v3
	;; [unrolled: 1-line block ×5, first 2 shown]
	v_add_lshl_u32 v8, v43, v45, 3
	v_fma_f32 v17, v15, 2.0, -v24
	ds_write_b128 v8, v[4:7]
	ds_write_b128 v8, v[17:20] offset:16
	ds_write_b128 v8, v[0:3] offset:32
	;; [unrolled: 1-line block ×3, first 2 shown]
.LBB0_7:
	s_or_b32 exec_lo, exec_lo, s4
	v_and_b32_e32 v28, 7, v44
	s_load_dwordx4 s[4:7], s[2:3], 0x0
	s_waitcnt lgkmcnt(0)
	s_barrier
	buffer_gl0_inv
	v_mul_u32_u24_e32 v0, 6, v28
	v_lshlrev_b32_e32 v47, 3, v16
	v_lshrrev_b32_e32 v24, 3, v44
	v_lshlrev_b32_e32 v0, 3, v0
	s_clause 0x2
	global_load_dwordx4 v[8:11], v0, s[0:1]
	global_load_dwordx4 v[4:7], v0, s[0:1] offset:16
	global_load_dwordx4 v[0:3], v0, s[0:1] offset:32
	ds_read2st64_b64 v[12:15], v47 offset1:1
	ds_read2st64_b64 v[16:19], v47 offset0:2 offset1:3
	ds_read2st64_b64 v[20:23], v47 offset0:4 offset1:5
	v_mul_u32_u24_e32 v29, 56, v24
	ds_read_b64 v[24:25], v47 offset:3072
	s_waitcnt vmcnt(0) lgkmcnt(0)
	s_barrier
	buffer_gl0_inv
	v_or_b32_e32 v28, v29, v28
	v_add_lshl_u32 v48, v43, v28, 3
	v_mul_f32_e32 v28, v15, v9
	v_mul_f32_e32 v29, v14, v9
	;; [unrolled: 1-line block ×12, first 2 shown]
	v_fma_f32 v14, v14, v8, -v28
	v_fmac_f32_e32 v29, v15, v8
	v_fma_f32 v15, v16, v10, -v30
	v_fmac_f32_e32 v31, v17, v10
	;; [unrolled: 2-line block ×6, first 2 shown]
	v_add_f32_e32 v20, v14, v18
	v_add_f32_e32 v21, v29, v39
	;; [unrolled: 1-line block ×4, first 2 shown]
	v_sub_f32_e32 v14, v14, v18
	v_sub_f32_e32 v18, v29, v39
	;; [unrolled: 1-line block ×4, first 2 shown]
	v_add_f32_e32 v24, v16, v17
	v_add_f32_e32 v25, v33, v35
	v_sub_f32_e32 v16, v17, v16
	v_sub_f32_e32 v17, v35, v33
	v_add_f32_e32 v28, v22, v20
	v_add_f32_e32 v29, v23, v21
	v_sub_f32_e32 v30, v22, v20
	v_sub_f32_e32 v31, v23, v21
	;; [unrolled: 1-line block ×6, first 2 shown]
	v_add_f32_e32 v32, v16, v15
	v_add_f32_e32 v33, v17, v19
	v_sub_f32_e32 v34, v16, v15
	v_sub_f32_e32 v35, v17, v19
	;; [unrolled: 1-line block ×4, first 2 shown]
	v_add_f32_e32 v24, v24, v28
	v_add_f32_e32 v25, v25, v29
	v_sub_f32_e32 v16, v14, v16
	v_sub_f32_e32 v17, v18, v17
	v_add_f32_e32 v14, v32, v14
	v_add_f32_e32 v18, v33, v18
	v_mul_f32_e32 v20, 0x3f4a47b2, v20
	v_mul_f32_e32 v21, 0x3f4a47b2, v21
	;; [unrolled: 1-line block ×8, first 2 shown]
	v_add_f32_e32 v28, v12, v24
	v_add_f32_e32 v29, v13, v25
	v_fmamk_f32 v12, v22, 0x3d64c772, v20
	v_fmamk_f32 v13, v23, 0x3d64c772, v21
	v_fma_f32 v22, 0x3f3bfb3b, v30, -v32
	v_fma_f32 v23, 0x3f3bfb3b, v31, -v33
	;; [unrolled: 1-line block ×4, first 2 shown]
	v_fmamk_f32 v41, v16, 0x3eae86e6, v34
	v_fmamk_f32 v42, v17, 0x3eae86e6, v35
	v_fma_f32 v15, 0x3f5ff5aa, v15, -v34
	v_fma_f32 v19, 0x3f5ff5aa, v19, -v35
	;; [unrolled: 1-line block ×4, first 2 shown]
	v_fmamk_f32 v24, v24, 0xbf955555, v28
	v_fmamk_f32 v25, v25, 0xbf955555, v29
	v_fmac_f32_e32 v41, 0x3ee1c552, v14
	v_fmac_f32_e32 v42, 0x3ee1c552, v18
	;; [unrolled: 1-line block ×6, first 2 shown]
	v_add_f32_e32 v12, v12, v24
	v_add_f32_e32 v13, v13, v25
	;; [unrolled: 1-line block ×7, first 2 shown]
	v_sub_f32_e32 v31, v13, v41
	v_add_f32_e32 v32, v17, v18
	v_sub_f32_e32 v33, v20, v16
	v_sub_f32_e32 v34, v14, v19
	v_add_f32_e32 v35, v15, v21
	v_add_f32_e32 v36, v19, v14
	v_sub_f32_e32 v37, v21, v15
	v_sub_f32_e32 v38, v18, v17
	v_add_f32_e32 v39, v16, v20
	v_sub_f32_e32 v24, v12, v42
	v_add_f32_e32 v25, v41, v13
	ds_write2_b64 v48, v[28:29], v[30:31] offset1:8
	ds_write2_b64 v48, v[32:33], v[34:35] offset0:16 offset1:24
	ds_write2_b64 v48, v[36:37], v[38:39] offset0:32 offset1:40
	ds_write_b64 v48, v[24:25] offset:384
	s_waitcnt lgkmcnt(0)
	s_barrier
	buffer_gl0_inv
	s_and_saveexec_b32 s2, vcc_lo
	s_cbranch_execz .LBB0_9
; %bb.8:
	v_add_nc_u32_e32 v12, 0x400, v47
	v_add_nc_u32_e32 v13, 0x800, v47
	ds_read2_b64 v[28:31], v47 offset1:56
	ds_read2_b64 v[32:35], v47 offset0:112 offset1:168
	ds_read2_b64 v[36:39], v12 offset0:96 offset1:152
	;; [unrolled: 1-line block ×3, first 2 shown]
.LBB0_9:
	s_or_b32 exec_lo, exec_lo, s2
	v_subrev_nc_u32_e32 v12, 56, v44
	v_cndmask_b32_e32 v12, v12, v44, vcc_lo
	v_mul_i32_i24_e32 v13, 56, v12
	v_mul_hi_i32_i24_e32 v12, 56, v12
	v_add_co_u32 v41, s0, s0, v13
	v_add_co_ci_u32_e64 v42, s0, s1, v12, s0
	s_clause 0x3
	global_load_dwordx4 v[20:23], v[41:42], off offset:384
	global_load_dwordx4 v[12:15], v[41:42], off offset:400
	;; [unrolled: 1-line block ×3, first 2 shown]
	global_load_dwordx2 v[41:42], v[41:42], off offset:432
	s_waitcnt vmcnt(3) lgkmcnt(3)
	v_mul_f32_e32 v49, v31, v21
	v_mul_f32_e32 v50, v30, v21
	s_waitcnt lgkmcnt(2)
	v_mul_f32_e32 v51, v33, v23
	v_mul_f32_e32 v52, v32, v23
	s_waitcnt vmcnt(2)
	v_mul_f32_e32 v53, v35, v13
	v_mul_f32_e32 v54, v34, v13
	s_waitcnt lgkmcnt(1)
	v_mul_f32_e32 v55, v37, v15
	v_mul_f32_e32 v56, v36, v15
	s_waitcnt vmcnt(1)
	;; [unrolled: 6-line block ×3, first 2 shown]
	v_mul_f32_e32 v61, v27, v42
	v_mul_f32_e32 v62, v26, v42
	v_fma_f32 v30, v30, v20, -v49
	v_fmac_f32_e32 v50, v31, v20
	v_fma_f32 v31, v32, v22, -v51
	v_fmac_f32_e32 v52, v33, v22
	;; [unrolled: 2-line block ×7, first 2 shown]
	v_sub_f32_e32 v26, v28, v33
	v_sub_f32_e32 v27, v29, v56
	;; [unrolled: 1-line block ×8, first 2 shown]
	v_fma_f32 v28, v28, 2.0, -v26
	v_fma_f32 v29, v29, 2.0, -v27
	;; [unrolled: 1-line block ×8, first 2 shown]
	v_sub_f32_e32 v50, v26, v33
	v_add_f32_e32 v51, v27, v24
	v_sub_f32_e32 v24, v34, v36
	v_add_f32_e32 v25, v35, v25
	v_sub_f32_e32 v31, v28, v31
	v_sub_f32_e32 v36, v29, v37
	v_fma_f32 v52, v26, 2.0, -v50
	v_fma_f32 v53, v27, 2.0, -v51
	v_sub_f32_e32 v26, v30, v32
	v_sub_f32_e32 v27, v49, v38
	v_fma_f32 v37, v34, 2.0, -v24
	v_fma_f32 v54, v35, 2.0, -v25
	v_fmamk_f32 v38, v24, 0x3f3504f3, v50
	v_fmamk_f32 v39, v25, 0x3f3504f3, v51
	v_fma_f32 v28, v28, 2.0, -v31
	v_fma_f32 v29, v29, 2.0, -v36
	;; [unrolled: 1-line block ×4, first 2 shown]
	v_fmamk_f32 v32, v37, 0xbf3504f3, v52
	v_fmamk_f32 v33, v54, 0xbf3504f3, v53
	v_sub_f32_e32 v34, v31, v27
	v_add_f32_e32 v35, v36, v26
	v_fmac_f32_e32 v38, 0xbf3504f3, v25
	v_fmac_f32_e32 v39, 0x3f3504f3, v24
	v_sub_f32_e32 v26, v28, v30
	v_sub_f32_e32 v27, v29, v49
	v_fmac_f32_e32 v32, 0xbf3504f3, v54
	v_fmac_f32_e32 v33, 0x3f3504f3, v37
	v_fma_f32 v30, v31, 2.0, -v34
	v_fma_f32 v31, v36, 2.0, -v35
	v_fma_f32 v24, v50, 2.0, -v38
	v_fma_f32 v36, v28, 2.0, -v26
	v_fma_f32 v37, v29, 2.0, -v27
	v_fma_f32 v28, v52, 2.0, -v32
	v_fma_f32 v29, v53, 2.0, -v33
	v_fma_f32 v25, v51, 2.0, -v39
	s_and_saveexec_b32 s0, vcc_lo
	s_cbranch_execz .LBB0_11
; %bb.10:
	v_lshl_add_u32 v49, v44, 3, v46
	v_add_nc_u32_e32 v50, 0x800, v49
	ds_write_b64 v47, v[36:37]
	ds_write2_b64 v49, v[28:29], v[30:31] offset0:56 offset1:112
	ds_write2_b64 v49, v[24:25], v[26:27] offset0:168 offset1:224
	;; [unrolled: 1-line block ×3, first 2 shown]
	ds_write_b64 v49, v[38:39] offset:3136
.LBB0_11:
	s_or_b32 exec_lo, exec_lo, s0
	s_waitcnt lgkmcnt(0)
	s_barrier
	buffer_gl0_inv
	s_and_saveexec_b32 s1, vcc_lo
	s_cbranch_execz .LBB0_13
; %bb.12:
	v_add_co_u32 v55, s0, s14, v45
	v_add_co_ci_u32_e64 v56, null, s15, 0, s0
	v_lshl_add_u32 v79, v43, 3, v45
	v_add_co_u32 v49, s0, 0x800, v55
	v_add_co_ci_u32_e64 v50, s0, 0, v56, s0
	v_add_co_u32 v51, s0, 0xe00, v55
	v_add_co_ci_u32_e64 v52, s0, 0, v56, s0
	global_load_dwordx2 v[49:50], v[49:50], off offset:1536
	v_add_co_u32 v53, s0, 0x1000, v55
	v_add_co_ci_u32_e64 v54, s0, 0, v56, s0
	v_add_co_u32 v55, s0, 0x1800, v55
	v_add_co_ci_u32_e64 v56, s0, 0, v56, s0
	s_clause 0x6
	global_load_dwordx2 v[61:62], v[51:52], off offset:448
	global_load_dwordx2 v[63:64], v[51:52], off offset:896
	;; [unrolled: 1-line block ×7, first 2 shown]
	ds_read_b64 v[51:52], v47
	v_add_nc_u32_e32 v80, 0x800, v79
	s_waitcnt vmcnt(7) lgkmcnt(0)
	v_mul_f32_e32 v53, v52, v50
	v_mul_f32_e32 v54, v51, v50
	v_fma_f32 v53, v51, v49, -v53
	v_fmac_f32_e32 v54, v52, v49
	ds_write_b64 v47, v[53:54]
	ds_read2_b64 v[49:52], v79 offset0:56 offset1:112
	ds_read2_b64 v[53:56], v79 offset0:168 offset1:224
	;; [unrolled: 1-line block ×3, first 2 shown]
	ds_read_b64 v[75:76], v79 offset:3136
	s_waitcnt vmcnt(4) lgkmcnt(2)
	v_mul_f32_e32 v82, v54, v66
	v_mul_f32_e32 v77, v50, v62
	;; [unrolled: 1-line block ×6, first 2 shown]
	s_waitcnt vmcnt(3)
	v_mul_f32_e32 v83, v56, v68
	v_mul_f32_e32 v66, v55, v68
	s_waitcnt vmcnt(2) lgkmcnt(1)
	v_mul_f32_e32 v84, v58, v70
	v_mul_f32_e32 v68, v57, v70
	s_waitcnt vmcnt(1)
	v_mul_f32_e32 v85, v60, v72
	v_mul_f32_e32 v70, v59, v72
	s_waitcnt vmcnt(0) lgkmcnt(0)
	v_mul_f32_e32 v86, v76, v74
	v_mul_f32_e32 v72, v75, v74
	v_fma_f32 v77, v49, v61, -v77
	v_fmac_f32_e32 v78, v50, v61
	v_fma_f32 v61, v51, v63, -v81
	v_fmac_f32_e32 v62, v52, v63
	;; [unrolled: 2-line block ×7, first 2 shown]
	ds_write2_b64 v79, v[77:78], v[61:62] offset0:56 offset1:112
	ds_write2_b64 v79, v[63:64], v[65:66] offset0:168 offset1:224
	;; [unrolled: 1-line block ×3, first 2 shown]
	ds_write_b64 v79, v[71:72] offset:3136
.LBB0_13:
	s_or_b32 exec_lo, exec_lo, s1
	s_waitcnt lgkmcnt(0)
	s_barrier
	buffer_gl0_inv
	s_and_saveexec_b32 s0, vcc_lo
	s_cbranch_execz .LBB0_15
; %bb.14:
	v_lshl_add_u32 v38, v44, 3, v46
	v_add_nc_u32_e32 v32, 0x800, v38
	ds_read2_b64 v[28:31], v38 offset0:56 offset1:112
	ds_read2_b64 v[24:27], v38 offset0:168 offset1:224
	ds_read2_b64 v[32:35], v32 offset0:24 offset1:80
	ds_read_b64 v[36:37], v47
	ds_read_b64 v[38:39], v38 offset:3136
.LBB0_15:
	s_or_b32 exec_lo, exec_lo, s0
	s_waitcnt lgkmcnt(1)
	v_sub_f32_e32 v49, v36, v26
	v_sub_f32_e32 v50, v37, v27
	;; [unrolled: 1-line block ×6, first 2 shown]
	s_waitcnt lgkmcnt(0)
	v_sub_f32_e32 v39, v25, v39
	v_sub_f32_e32 v54, v24, v38
	v_add_f32_e32 v33, v53, v49
	v_sub_f32_e32 v38, v50, v51
	v_add_f32_e32 v35, v39, v32
	v_sub_f32_e32 v52, v34, v54
	s_barrier
	buffer_gl0_inv
	v_fmamk_f32 v26, v35, 0x3f3504f3, v33
	v_fmamk_f32 v27, v52, 0x3f3504f3, v38
	v_fmac_f32_e32 v26, 0x3f3504f3, v52
	v_fmac_f32_e32 v27, 0xbf3504f3, v35
	s_and_saveexec_b32 s0, vcc_lo
	s_cbranch_execz .LBB0_17
; %bb.16:
	v_fma_f32 v37, v37, 2.0, -v50
	v_fma_f32 v31, v31, 2.0, -v53
	;; [unrolled: 1-line block ×6, first 2 shown]
	v_sub_f32_e32 v55, v37, v31
	v_fma_f32 v29, v29, 2.0, -v34
	v_fma_f32 v31, v25, 2.0, -v39
	;; [unrolled: 1-line block ×4, first 2 shown]
	v_sub_f32_e32 v24, v28, v24
	v_fma_f32 v38, v50, 2.0, -v38
	v_fma_f32 v34, v34, 2.0, -v52
	;; [unrolled: 1-line block ×4, first 2 shown]
	v_sub_f32_e32 v35, v29, v31
	v_sub_f32_e32 v39, v36, v30
	;; [unrolled: 1-line block ×3, first 2 shown]
	v_fmamk_f32 v31, v34, 0xbf3504f3, v38
	v_fmamk_f32 v30, v32, 0xbf3504f3, v33
	v_fma_f32 v37, v37, 2.0, -v55
	v_fma_f32 v29, v29, 2.0, -v35
	;; [unrolled: 1-line block ×4, first 2 shown]
	v_fmac_f32_e32 v31, 0xbf3504f3, v32
	v_fmac_f32_e32 v30, 0x3f3504f3, v34
	v_sub_f32_e32 v29, v37, v29
	v_fma_f32 v52, v55, 2.0, -v25
	v_sub_f32_e32 v28, v36, v24
	v_add_f32_e32 v24, v35, v39
	v_fma_f32 v35, v38, 2.0, -v31
	v_fma_f32 v34, v33, 2.0, -v30
	;; [unrolled: 1-line block ×4, first 2 shown]
	v_add_lshl_u32 v36, v43, v45, 3
	v_fma_f32 v51, v39, 2.0, -v24
	ds_write_b128 v36, v[32:35]
	ds_write_b128 v36, v[51:54] offset:16
	ds_write_b128 v36, v[28:31] offset:32
	;; [unrolled: 1-line block ×3, first 2 shown]
.LBB0_17:
	s_or_b32 exec_lo, exec_lo, s0
	s_waitcnt lgkmcnt(0)
	s_barrier
	buffer_gl0_inv
	ds_read2st64_b64 v[28:31], v47 offset1:1
	ds_read2st64_b64 v[32:35], v47 offset0:2 offset1:3
	ds_read2st64_b64 v[36:39], v47 offset0:4 offset1:5
	ds_read_b64 v[24:25], v47 offset:3072
	s_waitcnt lgkmcnt(0)
	s_barrier
	buffer_gl0_inv
	v_mul_f32_e32 v49, v9, v31
	v_mul_f32_e32 v9, v9, v30
	;; [unrolled: 1-line block ×12, first 2 shown]
	v_fmac_f32_e32 v49, v8, v30
	v_fma_f32 v8, v8, v31, -v9
	v_fmac_f32_e32 v50, v10, v32
	v_fma_f32 v9, v10, v33, -v11
	;; [unrolled: 2-line block ×6, first 2 shown]
	v_add_f32_e32 v1, v49, v54
	v_add_f32_e32 v5, v8, v2
	v_sub_f32_e32 v2, v8, v2
	v_add_f32_e32 v7, v50, v53
	v_add_f32_e32 v8, v9, v0
	v_sub_f32_e32 v6, v49, v54
	v_sub_f32_e32 v10, v50, v53
	;; [unrolled: 1-line block ×3, first 2 shown]
	v_add_f32_e32 v9, v51, v52
	v_add_f32_e32 v11, v4, v3
	v_sub_f32_e32 v24, v52, v51
	v_sub_f32_e32 v3, v3, v4
	v_add_f32_e32 v4, v7, v1
	v_add_f32_e32 v25, v8, v5
	v_sub_f32_e32 v30, v7, v1
	v_sub_f32_e32 v31, v8, v5
	;; [unrolled: 1-line block ×6, first 2 shown]
	v_add_f32_e32 v1, v24, v10
	v_add_f32_e32 v33, v3, v0
	v_sub_f32_e32 v34, v24, v10
	v_sub_f32_e32 v35, v3, v0
	;; [unrolled: 1-line block ×3, first 2 shown]
	v_add_f32_e32 v4, v9, v4
	v_add_f32_e32 v9, v11, v25
	v_sub_f32_e32 v11, v0, v2
	v_sub_f32_e32 v24, v6, v24
	;; [unrolled: 1-line block ×3, first 2 shown]
	v_add_f32_e32 v6, v1, v6
	v_add_f32_e32 v2, v33, v2
	;; [unrolled: 1-line block ×4, first 2 shown]
	v_mul_f32_e32 v25, 0x3f4a47b2, v32
	v_mul_f32_e32 v5, 0x3f4a47b2, v5
	;; [unrolled: 1-line block ×8, first 2 shown]
	v_fmamk_f32 v4, v4, 0xbf955555, v0
	v_fmamk_f32 v9, v9, 0xbf955555, v1
	;; [unrolled: 1-line block ×4, first 2 shown]
	v_fma_f32 v28, 0x3f3bfb3b, v30, -v28
	v_fma_f32 v29, 0x3f3bfb3b, v31, -v29
	;; [unrolled: 1-line block ×4, first 2 shown]
	v_fmamk_f32 v30, v24, 0xbeae86e6, v32
	v_fmamk_f32 v31, v3, 0xbeae86e6, v33
	v_fma_f32 v10, 0xbf5ff5aa, v10, -v32
	v_fma_f32 v11, 0xbf5ff5aa, v11, -v33
	;; [unrolled: 1-line block ×4, first 2 shown]
	v_add_f32_e32 v33, v7, v4
	v_add_f32_e32 v34, v8, v9
	;; [unrolled: 1-line block ×6, first 2 shown]
	v_fmac_f32_e32 v30, 0xbee1c552, v6
	v_fmac_f32_e32 v31, 0xbee1c552, v2
	;; [unrolled: 1-line block ×6, first 2 shown]
	v_add_f32_e32 v2, v31, v33
	v_sub_f32_e32 v3, v34, v30
	v_add_f32_e32 v4, v32, v25
	v_sub_f32_e32 v5, v29, v24
	v_sub_f32_e32 v6, v8, v11
	v_add_f32_e32 v7, v10, v28
	v_add_f32_e32 v8, v11, v8
	v_sub_f32_e32 v9, v28, v10
	v_sub_f32_e32 v10, v25, v32
	v_add_f32_e32 v11, v24, v29
	v_sub_f32_e32 v24, v33, v31
	v_add_f32_e32 v25, v30, v34
	ds_write2_b64 v48, v[0:1], v[2:3] offset1:8
	ds_write2_b64 v48, v[4:5], v[6:7] offset0:16 offset1:24
	ds_write2_b64 v48, v[8:9], v[10:11] offset0:32 offset1:40
	ds_write_b64 v48, v[24:25] offset:384
	s_waitcnt lgkmcnt(0)
	s_barrier
	buffer_gl0_inv
	s_and_saveexec_b32 s0, vcc_lo
	s_cbranch_execz .LBB0_19
; %bb.18:
	v_add_nc_u32_e32 v8, 0x400, v47
	v_add_nc_u32_e32 v24, 0x800, v47
	ds_read2_b64 v[0:3], v47 offset1:56
	ds_read2_b64 v[4:7], v47 offset0:112 offset1:168
	ds_read2_b64 v[8:11], v8 offset0:96 offset1:152
	;; [unrolled: 1-line block ×3, first 2 shown]
.LBB0_19:
	s_or_b32 exec_lo, exec_lo, s0
	s_and_saveexec_b32 s0, vcc_lo
	s_cbranch_execz .LBB0_21
; %bb.20:
	s_waitcnt lgkmcnt(2)
	v_mul_f32_e32 v33, v13, v7
	v_mul_f32_e32 v29, v23, v5
	;; [unrolled: 1-line block ×3, first 2 shown]
	s_waitcnt lgkmcnt(1)
	v_mul_f32_e32 v28, v15, v8
	v_mul_f32_e32 v32, v17, v10
	v_fmac_f32_e32 v33, v12, v6
	v_mul_f32_e32 v6, v13, v6
	v_fmac_f32_e32 v29, v22, v4
	v_fma_f32 v31, v20, v3, -v31
	v_mul_f32_e32 v3, v21, v3
	v_mul_f32_e32 v4, v23, v4
	v_fma_f32 v6, v12, v7, -v6
	s_waitcnt lgkmcnt(0)
	v_mul_f32_e32 v12, v19, v24
	v_mul_f32_e32 v30, v19, v25
	v_fma_f32 v28, v14, v9, -v28
	v_mul_f32_e32 v34, v42, v27
	v_fma_f32 v32, v16, v11, -v32
	v_mul_f32_e32 v7, v42, v26
	v_mul_f32_e32 v11, v17, v11
	v_fmac_f32_e32 v3, v20, v2
	v_mul_f32_e32 v2, v15, v9
	v_fma_f32 v4, v22, v5, -v4
	v_fma_f32 v5, v18, v25, -v12
	v_fmac_f32_e32 v30, v18, v24
	v_sub_f32_e32 v28, v1, v28
	v_fmac_f32_e32 v34, v41, v26
	v_fmac_f32_e32 v11, v16, v10
	v_fma_f32 v7, v41, v27, -v7
	v_fmac_f32_e32 v2, v14, v8
	v_sub_f32_e32 v5, v4, v5
	v_sub_f32_e32 v30, v29, v30
	;; [unrolled: 1-line block ×7, first 2 shown]
	v_fma_f32 v12, v1, 2.0, -v28
	v_fma_f32 v2, v4, 2.0, -v5
	v_sub_f32_e32 v13, v28, v30
	v_sub_f32_e32 v8, v32, v34
	v_fma_f32 v4, v3, 2.0, -v10
	v_fma_f32 v3, v33, 2.0, -v34
	v_add_f32_e32 v16, v5, v11
	v_sub_f32_e32 v15, v12, v2
	v_fma_f32 v18, v0, 2.0, -v11
	v_fma_f32 v2, v29, 2.0, -v30
	v_fma_f32 v19, v31, 2.0, -v32
	v_fma_f32 v5, v6, 2.0, -v7
	v_add_f32_e32 v14, v7, v10
	v_fmamk_f32 v1, v8, 0x3f3504f3, v13
	v_sub_f32_e32 v17, v4, v3
	v_sub_f32_e32 v6, v18, v2
	;; [unrolled: 1-line block ×3, first 2 shown]
	v_fma_f32 v21, v28, 2.0, -v13
	v_fma_f32 v22, v32, 2.0, -v8
	v_fmamk_f32 v0, v14, 0x3f3504f3, v16
	v_fma_f32 v10, v10, 2.0, -v14
	v_fma_f32 v23, v11, 2.0, -v16
	v_fmac_f32_e32 v1, 0xbf3504f3, v14
	v_fmamk_f32 v9, v22, 0xbf3504f3, v21
	v_fma_f32 v12, v12, 2.0, -v15
	v_fma_f32 v11, v19, 2.0, -v20
	;; [unrolled: 1-line block ×4, first 2 shown]
	v_fmac_f32_e32 v0, 0x3f3504f3, v8
	v_fmamk_f32 v8, v10, 0xbf3504f3, v23
	v_sub_f32_e32 v3, v15, v17
	v_fmac_f32_e32 v9, 0xbf3504f3, v10
	v_sub_f32_e32 v11, v12, v11
	v_sub_f32_e32 v10, v14, v4
	v_add_f32_e32 v2, v6, v20
	v_fmac_f32_e32 v8, 0x3f3504f3, v22
	v_lshl_add_u32 v17, v44, 3, v46
	v_fma_f32 v7, v15, 2.0, -v3
	v_fma_f32 v15, v12, 2.0, -v11
	;; [unrolled: 1-line block ×8, first 2 shown]
	v_add_nc_u32_e32 v16, 0x800, v17
	ds_write_b64 v47, v[14:15]
	ds_write2_b64 v17, v[12:13], v[6:7] offset0:56 offset1:112
	ds_write2_b64 v17, v[4:5], v[10:11] offset0:168 offset1:224
	;; [unrolled: 1-line block ×3, first 2 shown]
	ds_write_b64 v17, v[0:1] offset:3136
.LBB0_21:
	s_or_b32 exec_lo, exec_lo, s0
	s_waitcnt lgkmcnt(0)
	s_barrier
	buffer_gl0_inv
	s_and_b32 exec_lo, exec_lo, vcc_lo
	s_cbranch_execz .LBB0_23
; %bb.22:
	v_add_co_u32 v0, s0, s14, v45
	v_add_co_ci_u32_e64 v1, null, s15, 0, s0
	s_clause 0x4
	global_load_dwordx2 v[12:13], v45, s[14:15]
	global_load_dwordx2 v[14:15], v45, s[14:15] offset:448
	global_load_dwordx2 v[16:17], v45, s[14:15] offset:896
	global_load_dwordx2 v[18:19], v45, s[14:15] offset:1344
	global_load_dwordx2 v[20:21], v45, s[14:15] offset:1792
	v_add_co_u32 v0, vcc_lo, 0x800, v0
	v_add_co_ci_u32_e32 v1, vcc_lo, 0, v1, vcc_lo
	v_mad_u64_u32 v[8:9], null, s4, v44, 0
	v_lshl_add_u32 v30, v43, 3, v45
	s_clause 0x2
	global_load_dwordx2 v[22:23], v[0:1], off offset:192
	global_load_dwordx2 v[24:25], v[0:1], off offset:640
	;; [unrolled: 1-line block ×3, first 2 shown]
	v_mad_u64_u32 v[0:1], null, s6, v40, 0
	ds_read_b64 v[28:29], v47
	v_add_nc_u32_e32 v34, 0x800, v30
	v_mov_b32_e32 v2, v9
	s_mul_i32 s0, s5, 0x1c0
	s_mul_hi_u32 s1, s4, 0x1c0
	s_mul_i32 s2, s4, 0x1c0
	s_add_i32 s3, s1, s0
	v_mad_u64_u32 v[3:4], null, s7, v40, v[1:2]
	s_mov_b32 s0, 0x92492492
	s_mov_b32 s1, 0x3f624924
	v_mad_u64_u32 v[4:5], null, s5, v44, v[2:3]
	v_mov_b32_e32 v1, v3
	v_lshlrev_b64 v[10:11], 3, v[0:1]
	v_mov_b32_e32 v9, v4
	ds_read2_b64 v[0:3], v30 offset0:56 offset1:112
	ds_read2_b64 v[4:7], v30 offset0:168 offset1:224
	ds_read_b64 v[30:31], v30 offset:3136
	v_lshlrev_b64 v[8:9], 3, v[8:9]
	v_add_co_u32 v10, vcc_lo, s12, v10
	v_add_co_ci_u32_e32 v11, vcc_lo, s13, v11, vcc_lo
	v_add_co_u32 v32, vcc_lo, v10, v8
	v_add_co_ci_u32_e32 v33, vcc_lo, v11, v9, vcc_lo
	ds_read2_b64 v[8:11], v34 offset0:24 offset1:80
	v_add_co_u32 v34, vcc_lo, v32, s2
	v_add_co_ci_u32_e32 v35, vcc_lo, s3, v33, vcc_lo
	s_waitcnt vmcnt(7) lgkmcnt(4)
	v_mul_f32_e32 v36, v29, v13
	s_waitcnt vmcnt(6) lgkmcnt(3)
	v_mul_f32_e32 v37, v1, v15
	v_mul_f32_e32 v13, v28, v13
	v_mul_f32_e32 v15, v0, v15
	s_waitcnt vmcnt(5)
	v_mul_f32_e32 v38, v3, v17
	v_fmac_f32_e32 v36, v28, v12
	s_waitcnt vmcnt(4) lgkmcnt(2)
	v_mul_f32_e32 v39, v5, v19
	v_mul_f32_e32 v19, v4, v19
	v_fmac_f32_e32 v37, v0, v14
	v_mul_f32_e32 v17, v2, v17
	s_waitcnt vmcnt(3)
	v_mul_f32_e32 v40, v7, v21
	v_mul_f32_e32 v21, v6, v21
	v_fma_f32 v12, v12, v29, -v13
	v_fma_f32 v13, v14, v1, -v15
	v_fmac_f32_e32 v38, v2, v16
	v_cvt_f64_f32_e32 v[0:1], v36
	s_waitcnt vmcnt(2) lgkmcnt(0)
	v_mul_f32_e32 v36, v9, v23
	v_mul_f32_e32 v23, v8, v23
	v_fmac_f32_e32 v39, v4, v18
	v_fma_f32 v18, v18, v5, -v19
	v_cvt_f64_f32_e32 v[4:5], v37
	s_waitcnt vmcnt(1)
	v_mul_f32_e32 v37, v11, v25
	v_mul_f32_e32 v25, v10, v25
	v_fma_f32 v14, v16, v3, -v17
	v_fmac_f32_e32 v40, v6, v20
	v_fma_f32 v28, v20, v7, -v21
	v_cvt_f64_f32_e32 v[2:3], v12
	v_cvt_f64_f32_e32 v[6:7], v13
	;; [unrolled: 1-line block ×3, first 2 shown]
	s_waitcnt vmcnt(0)
	v_mul_f32_e32 v38, v31, v27
	v_mul_f32_e32 v27, v30, v27
	v_fmac_f32_e32 v36, v8, v22
	v_fma_f32 v22, v22, v9, -v23
	v_fmac_f32_e32 v37, v10, v24
	v_fma_f32 v24, v24, v11, -v25
	v_cvt_f64_f32_e32 v[14:15], v14
	v_fmac_f32_e32 v38, v30, v26
	v_fma_f32 v30, v26, v31, -v27
	v_cvt_f64_f32_e32 v[16:17], v39
	v_cvt_f64_f32_e32 v[18:19], v18
	;; [unrolled: 1-line block ×10, first 2 shown]
	v_mul_f64 v[0:1], v[0:1], s[0:1]
	v_mul_f64 v[2:3], v[2:3], s[0:1]
	;; [unrolled: 1-line block ×5, first 2 shown]
	v_add_co_u32 v36, vcc_lo, v34, s2
	v_add_co_ci_u32_e32 v37, vcc_lo, s3, v35, vcc_lo
	v_mul_f64 v[14:15], v[14:15], s[0:1]
	v_add_co_u32 v38, vcc_lo, v36, s2
	v_mul_f64 v[16:17], v[16:17], s[0:1]
	v_mul_f64 v[18:19], v[18:19], s[0:1]
	;; [unrolled: 1-line block ×10, first 2 shown]
	v_cvt_f32_f64_e32 v0, v[0:1]
	v_cvt_f32_f64_e32 v1, v[2:3]
	;; [unrolled: 1-line block ×4, first 2 shown]
	v_add_co_ci_u32_e32 v39, vcc_lo, s3, v37, vcc_lo
	v_cvt_f32_f64_e32 v4, v[12:13]
	v_add_co_u32 v40, vcc_lo, v38, s2
	v_cvt_f32_f64_e32 v5, v[14:15]
	v_add_co_ci_u32_e32 v41, vcc_lo, s3, v39, vcc_lo
	v_cvt_f32_f64_e32 v6, v[16:17]
	v_cvt_f32_f64_e32 v7, v[18:19]
	;; [unrolled: 1-line block ×10, first 2 shown]
	v_add_co_u32 v16, vcc_lo, v40, s2
	v_add_co_ci_u32_e32 v17, vcc_lo, s3, v41, vcc_lo
	v_add_co_u32 v18, vcc_lo, v16, s2
	v_add_co_ci_u32_e32 v19, vcc_lo, s3, v17, vcc_lo
	v_add_co_u32 v20, vcc_lo, v18, s2
	v_add_co_ci_u32_e32 v21, vcc_lo, s3, v19, vcc_lo
	global_store_dwordx2 v[32:33], v[0:1], off
	global_store_dwordx2 v[34:35], v[2:3], off
	;; [unrolled: 1-line block ×8, first 2 shown]
.LBB0_23:
	s_endpgm
	.section	.rodata,"a",@progbits
	.p2align	6, 0x0
	.amdhsa_kernel bluestein_single_back_len448_dim1_sp_op_CI_CI
		.amdhsa_group_segment_fixed_size 7168
		.amdhsa_private_segment_fixed_size 0
		.amdhsa_kernarg_size 104
		.amdhsa_user_sgpr_count 6
		.amdhsa_user_sgpr_private_segment_buffer 1
		.amdhsa_user_sgpr_dispatch_ptr 0
		.amdhsa_user_sgpr_queue_ptr 0
		.amdhsa_user_sgpr_kernarg_segment_ptr 1
		.amdhsa_user_sgpr_dispatch_id 0
		.amdhsa_user_sgpr_flat_scratch_init 0
		.amdhsa_user_sgpr_private_segment_size 0
		.amdhsa_wavefront_size32 1
		.amdhsa_uses_dynamic_stack 0
		.amdhsa_system_sgpr_private_segment_wavefront_offset 0
		.amdhsa_system_sgpr_workgroup_id_x 1
		.amdhsa_system_sgpr_workgroup_id_y 0
		.amdhsa_system_sgpr_workgroup_id_z 0
		.amdhsa_system_sgpr_workgroup_info 0
		.amdhsa_system_vgpr_workitem_id 0
		.amdhsa_next_free_vgpr 87
		.amdhsa_next_free_sgpr 16
		.amdhsa_reserve_vcc 1
		.amdhsa_reserve_flat_scratch 0
		.amdhsa_float_round_mode_32 0
		.amdhsa_float_round_mode_16_64 0
		.amdhsa_float_denorm_mode_32 3
		.amdhsa_float_denorm_mode_16_64 3
		.amdhsa_dx10_clamp 1
		.amdhsa_ieee_mode 1
		.amdhsa_fp16_overflow 0
		.amdhsa_workgroup_processor_mode 1
		.amdhsa_memory_ordered 1
		.amdhsa_forward_progress 0
		.amdhsa_shared_vgpr_count 0
		.amdhsa_exception_fp_ieee_invalid_op 0
		.amdhsa_exception_fp_denorm_src 0
		.amdhsa_exception_fp_ieee_div_zero 0
		.amdhsa_exception_fp_ieee_overflow 0
		.amdhsa_exception_fp_ieee_underflow 0
		.amdhsa_exception_fp_ieee_inexact 0
		.amdhsa_exception_int_div_zero 0
	.end_amdhsa_kernel
	.text
.Lfunc_end0:
	.size	bluestein_single_back_len448_dim1_sp_op_CI_CI, .Lfunc_end0-bluestein_single_back_len448_dim1_sp_op_CI_CI
                                        ; -- End function
	.section	.AMDGPU.csdata,"",@progbits
; Kernel info:
; codeLenInByte = 5964
; NumSgprs: 18
; NumVgprs: 87
; ScratchSize: 0
; MemoryBound: 0
; FloatMode: 240
; IeeeMode: 1
; LDSByteSize: 7168 bytes/workgroup (compile time only)
; SGPRBlocks: 2
; VGPRBlocks: 10
; NumSGPRsForWavesPerEU: 18
; NumVGPRsForWavesPerEU: 87
; Occupancy: 10
; WaveLimiterHint : 1
; COMPUTE_PGM_RSRC2:SCRATCH_EN: 0
; COMPUTE_PGM_RSRC2:USER_SGPR: 6
; COMPUTE_PGM_RSRC2:TRAP_HANDLER: 0
; COMPUTE_PGM_RSRC2:TGID_X_EN: 1
; COMPUTE_PGM_RSRC2:TGID_Y_EN: 0
; COMPUTE_PGM_RSRC2:TGID_Z_EN: 0
; COMPUTE_PGM_RSRC2:TIDIG_COMP_CNT: 0
	.text
	.p2alignl 6, 3214868480
	.fill 48, 4, 3214868480
	.type	__hip_cuid_811010cd07ee9210,@object ; @__hip_cuid_811010cd07ee9210
	.section	.bss,"aw",@nobits
	.globl	__hip_cuid_811010cd07ee9210
__hip_cuid_811010cd07ee9210:
	.byte	0                               ; 0x0
	.size	__hip_cuid_811010cd07ee9210, 1

	.ident	"AMD clang version 19.0.0git (https://github.com/RadeonOpenCompute/llvm-project roc-6.4.0 25133 c7fe45cf4b819c5991fe208aaa96edf142730f1d)"
	.section	".note.GNU-stack","",@progbits
	.addrsig
	.addrsig_sym __hip_cuid_811010cd07ee9210
	.amdgpu_metadata
---
amdhsa.kernels:
  - .args:
      - .actual_access:  read_only
        .address_space:  global
        .offset:         0
        .size:           8
        .value_kind:     global_buffer
      - .actual_access:  read_only
        .address_space:  global
        .offset:         8
        .size:           8
        .value_kind:     global_buffer
      - .actual_access:  read_only
        .address_space:  global
        .offset:         16
        .size:           8
        .value_kind:     global_buffer
      - .actual_access:  read_only
        .address_space:  global
        .offset:         24
        .size:           8
        .value_kind:     global_buffer
      - .actual_access:  read_only
        .address_space:  global
        .offset:         32
        .size:           8
        .value_kind:     global_buffer
      - .offset:         40
        .size:           8
        .value_kind:     by_value
      - .address_space:  global
        .offset:         48
        .size:           8
        .value_kind:     global_buffer
      - .address_space:  global
        .offset:         56
        .size:           8
        .value_kind:     global_buffer
      - .address_space:  global
        .offset:         64
        .size:           8
        .value_kind:     global_buffer
      - .address_space:  global
        .offset:         72
        .size:           8
        .value_kind:     global_buffer
      - .offset:         80
        .size:           4
        .value_kind:     by_value
      - .address_space:  global
        .offset:         88
        .size:           8
        .value_kind:     global_buffer
      - .address_space:  global
        .offset:         96
        .size:           8
        .value_kind:     global_buffer
    .group_segment_fixed_size: 7168
    .kernarg_segment_align: 8
    .kernarg_segment_size: 104
    .language:       OpenCL C
    .language_version:
      - 2
      - 0
    .max_flat_workgroup_size: 128
    .name:           bluestein_single_back_len448_dim1_sp_op_CI_CI
    .private_segment_fixed_size: 0
    .sgpr_count:     18
    .sgpr_spill_count: 0
    .symbol:         bluestein_single_back_len448_dim1_sp_op_CI_CI.kd
    .uniform_work_group_size: 1
    .uses_dynamic_stack: false
    .vgpr_count:     87
    .vgpr_spill_count: 0
    .wavefront_size: 32
    .workgroup_processor_mode: 1
amdhsa.target:   amdgcn-amd-amdhsa--gfx1030
amdhsa.version:
  - 1
  - 2
...

	.end_amdgpu_metadata
